;; amdgpu-corpus repo=ROCm/rocFFT kind=compiled arch=gfx1030 opt=O3
	.text
	.amdgcn_target "amdgcn-amd-amdhsa--gfx1030"
	.amdhsa_code_object_version 6
	.protected	fft_rtc_back_len121_factors_11_11_wgs_121_tpt_11_halfLds_dp_op_CI_CI_sbrr_dirReg ; -- Begin function fft_rtc_back_len121_factors_11_11_wgs_121_tpt_11_halfLds_dp_op_CI_CI_sbrr_dirReg
	.globl	fft_rtc_back_len121_factors_11_11_wgs_121_tpt_11_halfLds_dp_op_CI_CI_sbrr_dirReg
	.p2align	8
	.type	fft_rtc_back_len121_factors_11_11_wgs_121_tpt_11_halfLds_dp_op_CI_CI_sbrr_dirReg,@function
fft_rtc_back_len121_factors_11_11_wgs_121_tpt_11_halfLds_dp_op_CI_CI_sbrr_dirReg: ; @fft_rtc_back_len121_factors_11_11_wgs_121_tpt_11_halfLds_dp_op_CI_CI_sbrr_dirReg
; %bb.0:
	s_clause 0x1
	s_load_dwordx4 s[16:19], s[4:5], 0x18
	s_load_dwordx4 s[12:15], s[4:5], 0x0
	v_mul_u32_u24_e32 v1, 0x1746, v0
	v_mov_b32_e32 v4, 0
	v_mov_b32_e32 v5, 0
	s_load_dwordx4 s[8:11], s[4:5], 0x58
	s_waitcnt lgkmcnt(0)
	s_load_dwordx2 s[20:21], s[16:17], 0x0
	s_load_dwordx2 s[2:3], s[18:19], 0x0
	v_lshrrev_b32_e32 v2, 16, v1
	v_mov_b32_e32 v1, 0
	v_cmp_lt_u64_e64 s0, s[14:15], 2
	v_mov_b32_e32 v45, v5
	v_mov_b32_e32 v44, v4
	v_mad_u64_u32 v[48:49], null, s6, 11, v[2:3]
	v_mov_b32_e32 v49, v1
	s_and_b32 vcc_lo, exec_lo, s0
	v_mov_b32_e32 v46, v48
	v_mov_b32_e32 v47, v49
	s_cbranch_vccnz .LBB0_8
; %bb.1:
	s_load_dwordx2 s[0:1], s[4:5], 0x10
	v_mov_b32_e32 v4, 0
	v_mov_b32_e32 v5, 0
	s_add_u32 s6, s18, 8
	v_mov_b32_e32 v6, v48
	s_addc_u32 s7, s19, 0
	v_mov_b32_e32 v7, v49
	v_mov_b32_e32 v45, v5
	s_add_u32 s22, s16, 8
	v_mov_b32_e32 v44, v4
	s_addc_u32 s23, s17, 0
	s_mov_b64 s[26:27], 1
	s_waitcnt lgkmcnt(0)
	s_add_u32 s24, s0, 8
	s_addc_u32 s25, s1, 0
.LBB0_2:                                ; =>This Inner Loop Header: Depth=1
	s_load_dwordx2 s[28:29], s[24:25], 0x0
                                        ; implicit-def: $vgpr46_vgpr47
	s_mov_b32 s0, exec_lo
	s_waitcnt lgkmcnt(0)
	v_or_b32_e32 v2, s29, v7
	v_cmpx_ne_u64_e32 0, v[1:2]
	s_xor_b32 s1, exec_lo, s0
	s_cbranch_execz .LBB0_4
; %bb.3:                                ;   in Loop: Header=BB0_2 Depth=1
	v_cvt_f32_u32_e32 v2, s28
	v_cvt_f32_u32_e32 v3, s29
	s_sub_u32 s0, 0, s28
	s_subb_u32 s30, 0, s29
	v_fmac_f32_e32 v2, 0x4f800000, v3
	v_rcp_f32_e32 v2, v2
	v_mul_f32_e32 v2, 0x5f7ffffc, v2
	v_mul_f32_e32 v3, 0x2f800000, v2
	v_trunc_f32_e32 v3, v3
	v_fmac_f32_e32 v2, 0xcf800000, v3
	v_cvt_u32_f32_e32 v3, v3
	v_cvt_u32_f32_e32 v2, v2
	v_mul_lo_u32 v8, s0, v3
	v_mul_hi_u32 v9, s0, v2
	v_mul_lo_u32 v10, s30, v2
	v_add_nc_u32_e32 v8, v9, v8
	v_mul_lo_u32 v9, s0, v2
	v_add_nc_u32_e32 v8, v8, v10
	v_mul_hi_u32 v10, v2, v9
	v_mul_lo_u32 v11, v2, v8
	v_mul_hi_u32 v12, v2, v8
	v_mul_hi_u32 v13, v3, v9
	v_mul_lo_u32 v9, v3, v9
	v_mul_hi_u32 v14, v3, v8
	v_mul_lo_u32 v8, v3, v8
	v_add_co_u32 v10, vcc_lo, v10, v11
	v_add_co_ci_u32_e32 v11, vcc_lo, 0, v12, vcc_lo
	v_add_co_u32 v9, vcc_lo, v10, v9
	v_add_co_ci_u32_e32 v9, vcc_lo, v11, v13, vcc_lo
	v_add_co_ci_u32_e32 v10, vcc_lo, 0, v14, vcc_lo
	v_add_co_u32 v8, vcc_lo, v9, v8
	v_add_co_ci_u32_e32 v9, vcc_lo, 0, v10, vcc_lo
	v_add_co_u32 v2, vcc_lo, v2, v8
	v_add_co_ci_u32_e32 v3, vcc_lo, v3, v9, vcc_lo
	v_mul_hi_u32 v8, s0, v2
	v_mul_lo_u32 v10, s30, v2
	v_mul_lo_u32 v9, s0, v3
	v_add_nc_u32_e32 v8, v8, v9
	v_mul_lo_u32 v9, s0, v2
	v_add_nc_u32_e32 v8, v8, v10
	v_mul_hi_u32 v10, v2, v9
	v_mul_lo_u32 v11, v2, v8
	v_mul_hi_u32 v12, v2, v8
	v_mul_hi_u32 v13, v3, v9
	v_mul_lo_u32 v9, v3, v9
	v_mul_hi_u32 v14, v3, v8
	v_mul_lo_u32 v8, v3, v8
	v_add_co_u32 v10, vcc_lo, v10, v11
	v_add_co_ci_u32_e32 v11, vcc_lo, 0, v12, vcc_lo
	v_add_co_u32 v9, vcc_lo, v10, v9
	v_add_co_ci_u32_e32 v9, vcc_lo, v11, v13, vcc_lo
	v_add_co_ci_u32_e32 v10, vcc_lo, 0, v14, vcc_lo
	v_add_co_u32 v8, vcc_lo, v9, v8
	v_add_co_ci_u32_e32 v9, vcc_lo, 0, v10, vcc_lo
	v_add_co_u32 v8, vcc_lo, v2, v8
	v_add_co_ci_u32_e32 v10, vcc_lo, v3, v9, vcc_lo
	v_mul_hi_u32 v12, v6, v8
	v_mad_u64_u32 v[8:9], null, v7, v8, 0
	v_mad_u64_u32 v[2:3], null, v6, v10, 0
	v_mad_u64_u32 v[10:11], null, v7, v10, 0
	v_add_co_u32 v2, vcc_lo, v12, v2
	v_add_co_ci_u32_e32 v3, vcc_lo, 0, v3, vcc_lo
	v_add_co_u32 v2, vcc_lo, v2, v8
	v_add_co_ci_u32_e32 v2, vcc_lo, v3, v9, vcc_lo
	v_add_co_ci_u32_e32 v3, vcc_lo, 0, v11, vcc_lo
	v_add_co_u32 v8, vcc_lo, v2, v10
	v_add_co_ci_u32_e32 v9, vcc_lo, 0, v3, vcc_lo
	v_mul_lo_u32 v10, s29, v8
	v_mad_u64_u32 v[2:3], null, s28, v8, 0
	v_mul_lo_u32 v11, s28, v9
	v_sub_co_u32 v2, vcc_lo, v6, v2
	v_add3_u32 v3, v3, v11, v10
	v_sub_nc_u32_e32 v10, v7, v3
	v_subrev_co_ci_u32_e64 v10, s0, s29, v10, vcc_lo
	v_add_co_u32 v11, s0, v8, 2
	v_add_co_ci_u32_e64 v12, s0, 0, v9, s0
	v_sub_co_u32 v13, s0, v2, s28
	v_sub_co_ci_u32_e32 v3, vcc_lo, v7, v3, vcc_lo
	v_subrev_co_ci_u32_e64 v10, s0, 0, v10, s0
	v_cmp_le_u32_e32 vcc_lo, s28, v13
	v_cmp_eq_u32_e64 s0, s29, v3
	v_cndmask_b32_e64 v13, 0, -1, vcc_lo
	v_cmp_le_u32_e32 vcc_lo, s29, v10
	v_cndmask_b32_e64 v14, 0, -1, vcc_lo
	v_cmp_le_u32_e32 vcc_lo, s28, v2
	;; [unrolled: 2-line block ×3, first 2 shown]
	v_cndmask_b32_e64 v15, 0, -1, vcc_lo
	v_cmp_eq_u32_e32 vcc_lo, s29, v10
	v_cndmask_b32_e64 v2, v15, v2, s0
	v_cndmask_b32_e32 v10, v14, v13, vcc_lo
	v_add_co_u32 v13, vcc_lo, v8, 1
	v_add_co_ci_u32_e32 v14, vcc_lo, 0, v9, vcc_lo
	v_cmp_ne_u32_e32 vcc_lo, 0, v10
	v_cndmask_b32_e32 v3, v14, v12, vcc_lo
	v_cndmask_b32_e32 v10, v13, v11, vcc_lo
	v_cmp_ne_u32_e32 vcc_lo, 0, v2
	v_cndmask_b32_e32 v47, v9, v3, vcc_lo
	v_cndmask_b32_e32 v46, v8, v10, vcc_lo
.LBB0_4:                                ;   in Loop: Header=BB0_2 Depth=1
	s_andn2_saveexec_b32 s0, s1
	s_cbranch_execz .LBB0_6
; %bb.5:                                ;   in Loop: Header=BB0_2 Depth=1
	v_cvt_f32_u32_e32 v2, s28
	s_sub_i32 s1, 0, s28
	v_mov_b32_e32 v47, v1
	v_rcp_iflag_f32_e32 v2, v2
	v_mul_f32_e32 v2, 0x4f7ffffe, v2
	v_cvt_u32_f32_e32 v2, v2
	v_mul_lo_u32 v3, s1, v2
	v_mul_hi_u32 v3, v2, v3
	v_add_nc_u32_e32 v2, v2, v3
	v_mul_hi_u32 v2, v6, v2
	v_mul_lo_u32 v3, v2, s28
	v_add_nc_u32_e32 v8, 1, v2
	v_sub_nc_u32_e32 v3, v6, v3
	v_subrev_nc_u32_e32 v9, s28, v3
	v_cmp_le_u32_e32 vcc_lo, s28, v3
	v_cndmask_b32_e32 v3, v3, v9, vcc_lo
	v_cndmask_b32_e32 v2, v2, v8, vcc_lo
	v_cmp_le_u32_e32 vcc_lo, s28, v3
	v_add_nc_u32_e32 v8, 1, v2
	v_cndmask_b32_e32 v46, v2, v8, vcc_lo
.LBB0_6:                                ;   in Loop: Header=BB0_2 Depth=1
	s_or_b32 exec_lo, exec_lo, s0
	v_mul_lo_u32 v8, v47, s28
	v_mul_lo_u32 v9, v46, s29
	s_load_dwordx2 s[0:1], s[22:23], 0x0
	v_mad_u64_u32 v[2:3], null, v46, s28, 0
	s_load_dwordx2 s[28:29], s[6:7], 0x0
	s_add_u32 s26, s26, 1
	s_addc_u32 s27, s27, 0
	s_add_u32 s6, s6, 8
	s_addc_u32 s7, s7, 0
	s_add_u32 s22, s22, 8
	v_add3_u32 v3, v3, v9, v8
	v_sub_co_u32 v2, vcc_lo, v6, v2
	s_addc_u32 s23, s23, 0
	s_add_u32 s24, s24, 8
	v_sub_co_ci_u32_e32 v3, vcc_lo, v7, v3, vcc_lo
	s_addc_u32 s25, s25, 0
	s_waitcnt lgkmcnt(0)
	v_mul_lo_u32 v6, s0, v3
	v_mul_lo_u32 v7, s1, v2
	v_mad_u64_u32 v[4:5], null, s0, v2, v[4:5]
	v_mul_lo_u32 v3, s28, v3
	v_mul_lo_u32 v8, s29, v2
	v_mad_u64_u32 v[44:45], null, s28, v2, v[44:45]
	v_cmp_ge_u64_e64 s0, s[26:27], s[14:15]
	v_add3_u32 v5, v7, v5, v6
	v_add3_u32 v45, v8, v45, v3
	s_and_b32 vcc_lo, exec_lo, s0
	s_cbranch_vccnz .LBB0_8
; %bb.7:                                ;   in Loop: Header=BB0_2 Depth=1
	v_mov_b32_e32 v6, v46
	v_mov_b32_e32 v7, v47
	s_branch .LBB0_2
.LBB0_8:
	s_load_dwordx2 s[0:1], s[4:5], 0x28
	v_mul_hi_u32 v1, 0x1745d175, v0
	s_lshl_b64 s[4:5], s[14:15], 3
                                        ; implicit-def: $vgpr60
	s_add_u32 s36, s18, s4
	s_addc_u32 s37, s19, s5
	s_waitcnt lgkmcnt(0)
	v_cmp_gt_u64_e32 vcc_lo, s[0:1], v[46:47]
	v_cmp_le_u64_e64 s0, s[0:1], v[46:47]
                                        ; implicit-def: $sgpr1
	s_and_saveexec_b32 s6, s0
	s_xor_b32 s0, exec_lo, s6
; %bb.9:
	v_mul_u32_u24_e32 v1, 11, v1
	s_mov_b32 s1, 0
                                        ; implicit-def: $vgpr4_vgpr5
	v_sub_nc_u32_e32 v60, v0, v1
                                        ; implicit-def: $vgpr1
                                        ; implicit-def: $vgpr0
; %bb.10:
	s_or_saveexec_b32 s6, s0
	v_mov_b32_e32 v59, s1
                                        ; implicit-def: $vgpr2_vgpr3
                                        ; implicit-def: $vgpr10_vgpr11
                                        ; implicit-def: $vgpr14_vgpr15
                                        ; implicit-def: $vgpr22_vgpr23
                                        ; implicit-def: $vgpr34_vgpr35
                                        ; implicit-def: $vgpr30_vgpr31
                                        ; implicit-def: $vgpr38_vgpr39
                                        ; implicit-def: $vgpr18_vgpr19
                                        ; implicit-def: $vgpr26_vgpr27
                                        ; implicit-def: $vgpr42_vgpr43
                                        ; implicit-def: $vgpr6_vgpr7
	s_xor_b32 exec_lo, exec_lo, s6
	s_cbranch_execz .LBB0_12
; %bb.11:
	s_add_u32 s0, s16, s4
	s_addc_u32 s1, s17, s5
	v_mul_u32_u24_e32 v1, 11, v1
	s_load_dwordx2 s[0:1], s[0:1], 0x0
	v_lshlrev_b64 v[4:5], 4, v[4:5]
	v_sub_nc_u32_e32 v60, v0, v1
	v_add_nc_u32_e32 v15, 11, v60
	v_mad_u64_u32 v[0:1], null, s20, v60, 0
	v_add_nc_u32_e32 v18, 33, v60
	v_add_nc_u32_e32 v19, 44, v60
	v_mad_u64_u32 v[2:3], null, s20, v15, 0
	v_add_nc_u32_e32 v17, 22, v60
	v_mad_u64_u32 v[10:11], null, s20, v18, 0
	v_add_nc_u32_e32 v22, 0x4d, v60
	s_waitcnt lgkmcnt(0)
	v_mul_lo_u32 v16, s1, v46
	v_mul_lo_u32 v20, s0, v47
	v_mad_u64_u32 v[6:7], null, s0, v46, 0
	v_mad_u64_u32 v[12:13], null, s21, v60, v[1:2]
	;; [unrolled: 1-line block ×4, first 2 shown]
	v_add3_u32 v7, v7, v20, v16
	v_mad_u64_u32 v[15:16], null, s21, v15, v[3:4]
	v_mov_b32_e32 v1, v12
	v_mad_u64_u32 v[11:12], null, s21, v18, v[11:12]
	v_lshlrev_b64 v[6:7], 4, v[6:7]
	v_mov_b32_e32 v12, v14
	v_lshlrev_b64 v[0:1], 4, v[0:1]
	v_mov_b32_e32 v3, v15
	v_add_nc_u32_e32 v15, 55, v60
	v_mad_u64_u32 v[16:17], null, s21, v17, v[9:10]
	v_add_co_u32 v6, s0, s8, v6
	v_add_co_ci_u32_e64 v7, s0, s9, v7, s0
	v_lshlrev_b64 v[2:3], 4, v[2:3]
	v_add_co_u32 v34, s0, v6, v4
	v_add_co_ci_u32_e64 v35, s0, v7, v5, s0
	v_mad_u64_u32 v[20:21], null, s20, v15, 0
	v_add_co_u32 v0, s0, v34, v0
	v_add_co_ci_u32_e64 v1, s0, v35, v1, s0
	v_add_co_u32 v2, s0, v34, v2
	v_add_co_ci_u32_e64 v3, s0, v35, v3, s0
	s_clause 0x1
	global_load_dwordx4 v[4:7], v[0:1], off
	global_load_dwordx4 v[40:43], v[2:3], off
	v_mad_u64_u32 v[2:3], null, s21, v19, v[12:13]
	v_mov_b32_e32 v3, v21
	v_mov_b32_e32 v9, v16
	v_add_nc_u32_e32 v28, 0x58, v60
	v_add_nc_u32_e32 v49, 0x63, v60
	v_add_nc_u32_e32 v50, 0x6e, v60
	v_mov_b32_e32 v59, v60
	v_mov_b32_e32 v14, v2
	v_lshlrev_b64 v[0:1], 4, v[8:9]
	v_lshlrev_b64 v[8:9], 4, v[10:11]
	v_mad_u64_u32 v[32:33], null, s20, v50, 0
	v_lshlrev_b64 v[10:11], 4, v[13:14]
	v_add_co_u32 v0, s0, v34, v0
	v_add_co_ci_u32_e64 v1, s0, v35, v1, s0
	v_add_co_u32 v8, s0, v34, v8
	v_add_co_ci_u32_e64 v9, s0, v35, v9, s0
	s_clause 0x1
	global_load_dwordx4 v[24:27], v[0:1], off
	global_load_dwordx4 v[16:19], v[8:9], off
	v_add_co_u32 v0, s0, v34, v10
	v_add_co_ci_u32_e64 v1, s0, v35, v11, s0
	v_mad_u64_u32 v[10:11], null, s20, v22, 0
	s_waitcnt vmcnt(3)
	v_mad_u64_u32 v[2:3], null, s21, v15, v[3:4]
	v_add_nc_u32_e32 v3, 0x42, v60
	v_mad_u64_u32 v[14:15], null, s20, v28, 0
	v_mad_u64_u32 v[12:13], null, s20, v3, 0
	v_mov_b32_e32 v21, v2
	v_lshlrev_b64 v[8:9], 4, v[20:21]
	v_mov_b32_e32 v2, v13
	v_mad_u64_u32 v[20:21], null, s20, v49, 0
	v_mad_u64_u32 v[2:3], null, s21, v3, v[2:3]
	v_mov_b32_e32 v3, v15
	v_add_co_u32 v8, s0, v34, v8
	v_add_co_ci_u32_e64 v9, s0, v35, v9, s0
	v_mov_b32_e32 v13, v2
	v_mov_b32_e32 v2, v11
	v_mad_u64_u32 v[22:23], null, s21, v22, v[2:3]
	v_mad_u64_u32 v[2:3], null, s21, v28, v[3:4]
	s_clause 0x1
	global_load_dwordx4 v[36:39], v[0:1], off
	global_load_dwordx4 v[28:31], v[8:9], off
	v_mov_b32_e32 v0, v21
	v_lshlrev_b64 v[8:9], 4, v[12:13]
	v_mov_b32_e32 v11, v22
	v_mad_u64_u32 v[0:1], null, s21, v49, v[0:1]
	v_mov_b32_e32 v15, v2
	v_mov_b32_e32 v1, v33
	v_add_co_u32 v2, s0, v34, v8
	v_add_co_ci_u32_e64 v3, s0, v35, v9, s0
	v_lshlrev_b64 v[8:9], 4, v[10:11]
	v_mad_u64_u32 v[10:11], null, s21, v50, v[1:2]
	v_lshlrev_b64 v[11:12], 4, v[14:15]
	v_mov_b32_e32 v21, v0
	v_add_co_u32 v0, s0, v34, v8
	v_add_co_ci_u32_e64 v1, s0, v35, v9, s0
	v_mov_b32_e32 v33, v10
	v_lshlrev_b64 v[8:9], 4, v[20:21]
	v_add_co_u32 v10, s0, v34, v11
	v_add_co_ci_u32_e64 v11, s0, v35, v12, s0
	v_lshlrev_b64 v[12:13], 4, v[32:33]
	v_add_co_u32 v8, s0, v34, v8
	v_add_co_ci_u32_e64 v9, s0, v35, v9, s0
	v_add_co_u32 v49, s0, v34, v12
	v_add_co_ci_u32_e64 v50, s0, v35, v13, s0
	s_clause 0x4
	global_load_dwordx4 v[32:35], v[2:3], off
	global_load_dwordx4 v[20:23], v[0:1], off
	;; [unrolled: 1-line block ×5, first 2 shown]
.LBB0_12:
	s_or_b32 exec_lo, exec_lo, s6
	s_waitcnt vmcnt(9)
	v_add_f64 v[61:62], v[40:41], v[4:5]
	v_add_f64 v[63:64], v[42:43], v[6:7]
	s_waitcnt vmcnt(1)
	v_add_f64 v[83:84], v[8:9], v[24:25]
	v_add_f64 v[87:88], v[24:25], -v[8:9]
	v_add_f64 v[67:68], v[12:13], v[16:17]
	v_add_f64 v[71:72], v[16:17], -v[12:13]
	v_add_f64 v[85:86], v[10:11], v[26:27]
	v_add_f64 v[69:70], v[14:15], v[18:19]
	v_add_f64 v[73:74], v[18:19], -v[14:15]
	s_waitcnt vmcnt(0)
	v_add_f64 v[65:66], v[42:43], -v[2:3]
	v_add_f64 v[81:82], v[0:1], v[40:41]
	v_add_f64 v[40:41], v[40:41], -v[0:1]
	v_mul_hi_u32 v89, 0xba2e8ba3, v48
	s_mov_b32 s6, 0xf8bb580b
	s_mov_b32 s20, 0x8eee2c13
	;; [unrolled: 1-line block ×9, first 2 shown]
	v_add_f64 v[24:25], v[24:25], v[61:62]
	v_add_f64 v[61:62], v[26:27], -v[10:11]
	v_add_f64 v[26:27], v[26:27], v[63:64]
	s_mov_b32 s23, 0xbfd207e7
	v_add_f64 v[42:43], v[2:3], v[42:43]
	s_mov_b32 s4, 0x8764f0ba
	s_mov_b32 s16, 0xd9c712b6
	;; [unrolled: 1-line block ×4, first 2 shown]
	v_mul_f64 v[63:64], v[65:66], s[20:21]
	v_mul_f64 v[91:92], v[65:66], s[0:1]
	;; [unrolled: 1-line block ×5, first 2 shown]
	s_mov_b32 s24, 0x9bcd5057
	s_mov_b32 s5, 0x3feaeb8c
	;; [unrolled: 1-line block ×8, first 2 shown]
	v_add_f64 v[16:17], v[16:17], v[24:25]
	v_lshrrev_b32_e32 v24, 3, v89
	v_add_f64 v[18:19], v[18:19], v[26:27]
	v_mul_f64 v[89:90], v[65:66], s[18:19]
	s_mov_b32 s31, 0x3fe14ced
	s_mov_b32 s28, s22
	v_mul_lo_u32 v169, v24, 11
	v_mul_f64 v[24:25], v[65:66], s[6:7]
	v_mul_f64 v[65:66], v[65:66], s[22:23]
	s_mov_b32 s34, s18
	s_mov_b32 s30, s6
	v_add_f64 v[57:58], v[20:21], v[36:37]
	v_add_f64 v[75:76], v[36:37], -v[20:21]
	v_mul_f64 v[99:100], v[40:41], s[0:1]
	v_mul_f64 v[26:27], v[40:41], s[22:23]
	;; [unrolled: 1-line block ×6, first 2 shown]
	v_fma_f64 v[131:132], v[81:82], s[16:17], v[63:64]
	v_fma_f64 v[63:64], v[81:82], s[16:17], -v[63:64]
	v_fma_f64 v[135:136], v[81:82], s[8:9], v[91:92]
	v_add_f64 v[16:17], v[36:37], v[16:17]
	v_mul_f64 v[36:37], v[61:62], s[20:21]
	v_add_f64 v[18:19], v[38:39], v[18:19]
	v_mul_f64 v[61:62], v[61:62], s[30:31]
	v_fma_f64 v[133:134], v[81:82], s[14:15], v[89:90]
	v_fma_f64 v[89:90], v[81:82], s[14:15], -v[89:90]
	v_fma_f64 v[91:92], v[81:82], s[8:9], -v[91:92]
	v_fma_f64 v[129:130], v[81:82], s[4:5], v[24:25]
	v_fma_f64 v[24:25], v[81:82], s[4:5], -v[24:25]
	v_fma_f64 v[137:138], v[81:82], s[24:25], v[65:66]
	v_fma_f64 v[65:66], v[81:82], s[24:25], -v[65:66]
	v_fma_f64 v[81:82], v[42:43], s[4:5], -v[93:94]
	v_fma_f64 v[93:94], v[42:43], s[4:5], v[93:94]
	s_mov_b32 s27, 0x3fed1bb4
	s_mov_b32 s26, s20
	v_add_f64 v[53:54], v[32:33], v[28:29]
	v_add_f64 v[55:56], v[28:29], -v[32:33]
	v_mul_f64 v[107:108], v[87:88], s[0:1]
	v_mul_f64 v[109:110], v[87:88], s[28:29]
	;; [unrolled: 1-line block ×5, first 2 shown]
	v_add_f64 v[16:17], v[28:29], v[16:17]
	v_mul_f64 v[115:116], v[73:74], s[28:29]
	v_add_f64 v[18:19], v[30:31], v[18:19]
	v_mul_f64 v[117:118], v[73:74], s[26:27]
	v_mul_f64 v[119:120], v[73:74], s[6:7]
	;; [unrolled: 1-line block ×8, first 2 shown]
	v_fma_f64 v[139:140], v[42:43], s[16:17], -v[95:96]
	v_fma_f64 v[95:96], v[42:43], s[16:17], v[95:96]
	v_fma_f64 v[141:142], v[42:43], s[14:15], -v[97:98]
	v_add_f64 v[51:52], v[34:35], v[30:31]
	v_add_f64 v[79:80], v[30:31], -v[34:35]
	v_fma_f64 v[97:98], v[42:43], s[14:15], v[97:98]
	v_fma_f64 v[143:144], v[42:43], s[8:9], -v[99:100]
	v_fma_f64 v[30:31], v[42:43], s[8:9], v[99:100]
	v_fma_f64 v[99:100], v[83:84], s[8:9], v[40:41]
	v_fma_f64 v[40:41], v[83:84], s[8:9], -v[40:41]
	v_fma_f64 v[145:146], v[83:84], s[24:25], v[101:102]
	v_add_f64 v[16:17], v[32:33], v[16:17]
	v_fma_f64 v[32:33], v[42:43], s[24:25], -v[26:27]
	v_add_f64 v[18:19], v[34:35], v[18:19]
	v_fma_f64 v[26:27], v[42:43], s[24:25], v[26:27]
	v_fma_f64 v[42:43], v[83:84], s[16:17], v[36:37]
	v_fma_f64 v[36:37], v[83:84], s[16:17], -v[36:37]
	v_fma_f64 v[101:102], v[83:84], s[24:25], -v[101:102]
	v_fma_f64 v[147:148], v[83:84], s[14:15], v[103:104]
	v_fma_f64 v[103:104], v[83:84], s[14:15], -v[103:104]
	v_fma_f64 v[149:150], v[83:84], s[4:5], v[61:62]
	v_fma_f64 v[61:62], v[83:84], s[4:5], -v[61:62]
	v_fma_f64 v[83:84], v[85:86], s[16:17], -v[105:106]
	v_fma_f64 v[105:106], v[85:86], s[16:17], v[105:106]
	v_add_f64 v[81:82], v[6:7], v[81:82]
	v_add_f64 v[93:94], v[6:7], v[93:94]
	;; [unrolled: 1-line block ×3, first 2 shown]
	v_add_f64 v[77:78], v[38:39], -v[22:23]
	v_fma_f64 v[151:152], v[85:86], s[8:9], -v[107:108]
	v_fma_f64 v[107:108], v[85:86], s[8:9], v[107:108]
	v_fma_f64 v[153:154], v[85:86], s[24:25], -v[109:110]
	v_fma_f64 v[109:110], v[85:86], s[24:25], v[109:110]
	v_fma_f64 v[155:156], v[85:86], s[14:15], -v[111:112]
	v_add_f64 v[16:17], v[20:21], v[16:17]
	v_fma_f64 v[20:21], v[85:86], s[14:15], v[111:112]
	v_add_f64 v[18:19], v[22:23], v[18:19]
	v_fma_f64 v[34:35], v[85:86], s[4:5], -v[87:88]
	v_fma_f64 v[85:86], v[85:86], s[4:5], v[87:88]
	v_fma_f64 v[87:88], v[67:68], s[14:15], v[113:114]
	v_fma_f64 v[111:112], v[67:68], s[14:15], -v[113:114]
	v_fma_f64 v[113:114], v[67:68], s[24:25], v[115:116]
	v_fma_f64 v[115:116], v[67:68], s[24:25], -v[115:116]
	;; [unrolled: 2-line block ×5, first 2 shown]
	v_fma_f64 v[73:74], v[69:70], s[14:15], -v[121:122]
	v_fma_f64 v[121:122], v[69:70], s[14:15], v[121:122]
	v_fma_f64 v[163:164], v[69:70], s[24:25], -v[123:124]
	v_fma_f64 v[123:124], v[69:70], s[24:25], v[123:124]
	;; [unrolled: 2-line block ×3, first 2 shown]
	v_fma_f64 v[167:168], v[69:70], s[4:5], -v[127:128]
	v_add_f64 v[12:13], v[12:13], v[16:17]
	v_fma_f64 v[16:17], v[69:70], s[4:5], v[127:128]
	v_fma_f64 v[22:23], v[69:70], s[8:9], -v[28:29]
	v_fma_f64 v[28:29], v[69:70], s[8:9], v[28:29]
	v_add_f64 v[69:70], v[4:5], v[129:130]
	v_add_f64 v[24:25], v[4:5], v[24:25]
	;; [unrolled: 1-line block ×14, first 2 shown]
	v_mul_f64 v[38:39], v[77:78], s[0:1]
	v_add_f64 v[91:92], v[4:5], v[91:92]
	v_add_f64 v[137:138], v[4:5], v[137:138]
	v_add_f64 v[4:5], v[4:5], v[65:66]
	v_add_f64 v[8:9], v[8:9], v[12:13]
	v_add_f64 v[12:13], v[6:7], v[32:33]
	v_add_f64 v[6:7], v[6:7], v[26:27]
	v_add_f64 v[26:27], v[83:84], v[81:82]
	v_add_f64 v[32:33], v[105:106], v[93:94]
	v_add_f64 v[18:19], v[42:43], v[69:70]
	v_add_f64 v[24:25], v[36:37], v[24:25]
	v_add_f64 v[36:37], v[99:100], v[127:128]
	v_add_f64 v[42:43], v[151:152], v[129:130]
	v_add_f64 v[40:41], v[40:41], v[63:64]
	v_add_f64 v[63:64], v[107:108], v[95:96]
	v_add_f64 v[69:70], v[153:154], v[133:134]
	v_add_f64 v[81:82], v[101:102], v[89:90]
	v_add_f64 v[65:66], v[145:146], v[131:132]
	v_mul_f64 v[71:72], v[75:76], s[0:1]
	v_add_f64 v[20:21], v[20:21], v[30:31]
	v_add_f64 v[10:11], v[10:11], v[14:15]
	;; [unrolled: 1-line block ×4, first 2 shown]
	v_mul_f64 v[95:96], v[75:76], s[22:23]
	v_add_f64 v[30:31], v[149:150], v[137:138]
	v_add_f64 v[4:5], v[61:62], v[4:5]
	;; [unrolled: 1-line block ×7, first 2 shown]
	v_mul_f64 v[32:33], v[75:76], s[34:35]
	v_add_f64 v[12:13], v[87:88], v[18:19]
	v_add_f64 v[18:19], v[111:112], v[24:25]
	v_mul_f64 v[24:25], v[77:78], s[34:35]
	v_add_f64 v[34:35], v[113:114], v[36:37]
	v_add_f64 v[36:37], v[163:164], v[42:43]
	;; [unrolled: 1-line block ×5, first 2 shown]
	v_mul_f64 v[81:82], v[75:76], s[6:7]
	v_add_f64 v[61:62], v[157:158], v[65:66]
	v_mul_f64 v[65:66], v[77:78], s[6:7]
	v_fma_f64 v[73:74], v[57:58], s[8:9], v[38:39]
	v_add_f64 v[16:17], v[16:17], v[20:21]
	v_add_f64 v[40:41], v[115:116], v[40:41]
	v_fma_f64 v[85:86], v[49:50], s[8:9], -v[71:72]
	v_add_f64 v[87:88], v[159:160], v[89:90]
	v_mul_f64 v[89:90], v[77:78], s[22:23]
	v_add_f64 v[8:9], v[22:23], v[8:9]
	v_fma_f64 v[38:39], v[57:58], s[8:9], -v[38:39]
	v_add_f64 v[6:7], v[28:29], v[6:7]
	v_add_f64 v[91:92], v[103:104], v[91:92]
	v_fma_f64 v[20:21], v[49:50], s[14:15], -v[32:33]
	v_fma_f64 v[22:23], v[49:50], s[14:15], v[32:33]
	v_mul_f64 v[32:33], v[77:78], s[26:27]
	v_fma_f64 v[97:98], v[57:58], s[14:15], v[24:25]
	v_fma_f64 v[24:25], v[57:58], s[14:15], -v[24:25]
	v_add_f64 v[83:84], v[125:126], v[83:84]
	v_fma_f64 v[71:72], v[49:50], s[8:9], v[71:72]
	v_add_f64 v[30:31], v[161:162], v[30:31]
	v_add_f64 v[4:5], v[67:68], v[4:5]
	v_fma_f64 v[28:29], v[49:50], s[4:5], -v[81:82]
	v_mul_f64 v[75:76], v[75:76], s[26:27]
	v_fma_f64 v[67:68], v[57:58], s[4:5], v[65:66]
	v_add_f64 v[12:13], v[73:74], v[12:13]
	v_fma_f64 v[73:74], v[49:50], s[4:5], v[81:82]
	v_mul_f64 v[81:82], v[79:80], s[30:31]
	v_add_f64 v[93:94], v[155:156], v[139:140]
	v_add_f64 v[14:15], v[85:86], v[14:15]
	v_fma_f64 v[65:66], v[57:58], s[4:5], -v[65:66]
	v_fma_f64 v[77:78], v[57:58], s[24:25], v[89:90]
	v_add_f64 v[18:19], v[38:39], v[18:19]
	v_mul_f64 v[38:39], v[79:80], s[22:23]
	v_mul_f64 v[85:86], v[79:80], s[0:1]
	v_add_f64 v[20:21], v[20:21], v[36:37]
	v_add_f64 v[22:23], v[22:23], v[42:43]
	v_fma_f64 v[42:43], v[57:58], s[16:17], v[32:33]
	v_fma_f64 v[36:37], v[57:58], s[24:25], -v[89:90]
	v_add_f64 v[24:25], v[24:25], v[40:41]
	v_fma_f64 v[40:41], v[49:50], s[24:25], v[95:96]
	v_fma_f64 v[32:33], v[57:58], s[16:17], -v[32:33]
	v_mul_f64 v[57:58], v[79:80], s[26:27]
	v_add_f64 v[91:92], v[119:120], v[91:92]
	v_add_f64 v[28:29], v[28:29], v[63:64]
	v_mul_f64 v[63:64], v[79:80], s[18:19]
	v_sub_nc_u32_e32 v99, v48, v169
	v_add_f64 v[26:27], v[71:72], v[26:27]
	v_fma_f64 v[71:72], v[49:50], s[24:25], -v[95:96]
	v_add_f64 v[34:35], v[97:98], v[34:35]
	v_add_f64 v[61:62], v[67:68], v[61:62]
	;; [unrolled: 1-line block ×3, first 2 shown]
	v_fma_f64 v[73:74], v[49:50], s[16:17], -v[75:76]
	v_fma_f64 v[48:49], v[49:50], s[16:17], v[75:76]
	v_fma_f64 v[83:84], v[53:54], s[4:5], v[81:82]
	v_add_f64 v[93:94], v[167:168], v[93:94]
	v_add_f64 v[65:66], v[65:66], v[69:70]
	;; [unrolled: 1-line block ×3, first 2 shown]
	v_fma_f64 v[75:76], v[53:54], s[24:25], v[38:39]
	v_add_f64 v[30:31], v[42:43], v[30:31]
	v_mul_f64 v[42:43], v[55:56], s[18:19]
	v_mul_f64 v[77:78], v[55:56], s[22:23]
	v_fma_f64 v[81:82], v[53:54], s[4:5], -v[81:82]
	v_add_f64 v[16:17], v[40:41], v[16:17]
	v_fma_f64 v[40:41], v[53:54], s[8:9], v[85:86]
	v_mul_f64 v[89:90], v[55:56], s[26:27]
	v_mul_f64 v[79:80], v[55:56], s[30:31]
	;; [unrolled: 1-line block ×3, first 2 shown]
	v_add_f64 v[4:5], v[32:33], v[4:5]
	v_fma_f64 v[32:33], v[53:54], s[16:17], v[57:58]
	v_fma_f64 v[55:56], v[53:54], s[16:17], -v[57:58]
	v_fma_f64 v[57:58], v[53:54], s[14:15], v[63:64]
	v_add_f64 v[36:37], v[36:37], v[91:92]
	v_fma_f64 v[63:64], v[53:54], s[14:15], -v[63:64]
	v_fma_f64 v[85:86], v[53:54], s[8:9], -v[85:86]
	;; [unrolled: 1-line block ×3, first 2 shown]
	v_add_f64 v[6:7], v[48:49], v[6:7]
	v_add_f64 v[34:35], v[83:84], v[34:35]
	;; [unrolled: 1-line block ×5, first 2 shown]
	s_load_dwordx2 s[36:37], s[36:37], 0x0
	v_fma_f64 v[83:84], v[51:52], s[14:15], -v[42:43]
	v_fma_f64 v[42:43], v[51:52], s[14:15], v[42:43]
	v_fma_f64 v[48:49], v[51:52], s[24:25], -v[77:78]
	v_fma_f64 v[53:54], v[51:52], s[24:25], v[77:78]
	v_add_f64 v[24:25], v[81:82], v[24:25]
	v_add_f64 v[40:41], v[40:41], v[61:62]
	v_fma_f64 v[61:62], v[51:52], s[16:17], -v[89:90]
	v_fma_f64 v[81:82], v[51:52], s[16:17], v[89:90]
	v_fma_f64 v[73:74], v[51:52], s[4:5], -v[79:80]
	v_add_f64 v[32:33], v[32:33], v[69:70]
	v_fma_f64 v[75:76], v[51:52], s[4:5], v[79:80]
	v_add_f64 v[30:31], v[57:58], v[30:31]
	v_fma_f64 v[77:78], v[51:52], s[8:9], -v[87:88]
	v_fma_f64 v[79:80], v[51:52], s[8:9], v[87:88]
	v_add_f64 v[36:37], v[55:56], v[36:37]
	v_add_f64 v[4:5], v[63:64], v[4:5]
	v_mul_u32_u24_e32 v52, 0x79, v99
	v_add_f64 v[50:51], v[85:86], v[65:66]
	v_add_f64 v[18:19], v[38:39], v[18:19]
	;; [unrolled: 1-line block ×3, first 2 shown]
	v_lshl_add_u32 v2, v52, 3, 0
	v_add_f64 v[63:64], v[42:43], v[6:7]
	v_add_f64 v[48:49], v[48:49], v[14:15]
	;; [unrolled: 1-line block ×3, first 2 shown]
	v_mad_u32_u24 v58, 0x58, v60, v2
	v_lshl_add_u32 v42, v60, 3, v2
	v_add_f64 v[54:55], v[61:62], v[71:72]
	v_add_f64 v[56:57], v[81:82], v[16:17]
	;; [unrolled: 1-line block ×3, first 2 shown]
	v_mad_i32_i24 v43, 0xffffffb0, v60, v58
	ds_write2_b64 v58, v[0:1], v[12:13] offset1:1
	ds_write2_b64 v58, v[34:35], v[40:41] offset0:2 offset1:3
	ds_write2_b64 v58, v[32:33], v[30:31] offset0:4 offset1:5
	;; [unrolled: 1-line block ×4, first 2 shown]
	ds_write_b64 v58, v[18:19] offset:80
	s_waitcnt lgkmcnt(0)
	s_barrier
	buffer_gl0_inv
	ds_read_b64 v[40:41], v42
	ds_read2_b64 v[4:7], v43 offset0:11 offset1:22
	ds_read2_b64 v[12:15], v43 offset0:33 offset1:44
	ds_read2_b64 v[16:19], v43 offset0:55 offset1:66
	ds_read2_b64 v[8:11], v43 offset0:77 offset1:88
	ds_read2_b64 v[0:3], v43 offset0:99 offset1:110
	v_add_f64 v[20:21], v[73:74], v[20:21]
	v_add_f64 v[28:29], v[77:78], v[28:29]
	v_add_f64 v[22:23], v[75:76], v[22:23]
	v_add_f64 v[52:53], v[79:80], v[67:68]
	s_waitcnt lgkmcnt(0)
	s_barrier
	buffer_gl0_inv
	ds_write2_b64 v58, v[38:39], v[48:49] offset1:1
	ds_write2_b64 v58, v[20:21], v[28:29] offset0:2 offset1:3
	ds_write2_b64 v58, v[54:55], v[61:62] offset0:4 offset1:5
	;; [unrolled: 1-line block ×4, first 2 shown]
	ds_write_b64 v58, v[26:27] offset:80
	s_waitcnt lgkmcnt(0)
	s_barrier
	buffer_gl0_inv
	s_and_saveexec_b32 s33, vcc_lo
	s_cbranch_execz .LBB0_14
; %bb.13:
	v_mul_u32_u24_e32 v20, 10, v60
	v_lshlrev_b64 v[44:45], 4, v[44:45]
	v_lshlrev_b32_e32 v48, 4, v20
	s_clause 0x4
	global_load_dwordx4 v[24:27], v48, s[12:13] offset:64
	global_load_dwordx4 v[20:23], v48, s[12:13] offset:80
	;; [unrolled: 1-line block ×5, first 2 shown]
	ds_read2_b64 v[49:52], v43 offset0:55 offset1:66
	s_waitcnt vmcnt(4)
	v_mul_f64 v[55:56], v[16:17], v[26:27]
	v_mul_f64 v[53:54], v[16:17], v[24:25]
	s_waitcnt vmcnt(3)
	v_mul_f64 v[57:58], v[18:19], v[20:21]
	v_mul_f64 v[60:61], v[18:19], v[22:23]
	s_waitcnt vmcnt(2)
	v_mul_f64 v[62:63], v[14:15], v[36:37]
	s_waitcnt lgkmcnt(0)
	v_fma_f64 v[18:19], v[49:50], v[24:25], -v[55:56]
	v_mul_f64 v[24:25], v[14:15], v[38:39]
	v_fma_f64 v[16:17], v[49:50], v[26:27], v[53:54]
	v_fma_f64 v[14:15], v[51:52], v[22:23], v[57:58]
	v_fma_f64 v[22:23], v[51:52], v[20:21], -v[60:61]
	ds_read2_b64 v[49:52], v43 offset0:33 offset1:44
	s_waitcnt vmcnt(1)
	v_mul_f64 v[57:58], v[8:9], v[28:29]
	v_mul_f64 v[8:9], v[8:9], v[30:31]
	global_load_dwordx4 v[53:56], v48, s[12:13] offset:112
	s_waitcnt lgkmcnt(0)
	v_fma_f64 v[20:21], v[51:52], v[38:39], v[62:63]
	v_fma_f64 v[26:27], v[51:52], v[36:37], -v[24:25]
	ds_read2_b64 v[36:39], v43 offset0:77 offset1:88
	s_waitcnt lgkmcnt(0)
	v_fma_f64 v[28:29], v[36:37], v[28:29], -v[8:9]
	s_waitcnt vmcnt(1)
	v_mul_f64 v[8:9], v[12:13], v[32:33]
	v_mul_f64 v[12:13], v[12:13], v[34:35]
	v_fma_f64 v[24:25], v[36:37], v[30:31], v[57:58]
	v_fma_f64 v[8:9], v[49:50], v[34:35], v[8:9]
	v_fma_f64 v[12:13], v[49:50], v[32:33], -v[12:13]
	s_clause 0x1
	global_load_dwordx4 v[32:35], v48, s[12:13] offset:16
	global_load_dwordx4 v[49:52], v48, s[12:13]
	s_waitcnt vmcnt(2)
	v_mul_f64 v[30:31], v[10:11], v[53:54]
	v_mul_f64 v[36:37], v[10:11], v[55:56]
	v_fma_f64 v[10:11], v[38:39], v[55:56], v[30:31]
	v_fma_f64 v[30:31], v[38:39], v[53:54], -v[36:37]
	ds_read2_b64 v[36:39], v43 offset0:11 offset1:22
	v_add_f64 v[70:71], v[8:9], v[10:11]
	v_add_f64 v[66:67], v[12:13], v[30:31]
	s_waitcnt vmcnt(1)
	v_mul_f64 v[53:54], v[6:7], v[32:33]
	s_waitcnt vmcnt(0)
	v_mul_f64 v[55:56], v[4:5], v[49:50]
	v_mul_f64 v[57:58], v[6:7], v[34:35]
	;; [unrolled: 1-line block ×3, first 2 shown]
	s_waitcnt lgkmcnt(0)
	v_fma_f64 v[4:5], v[38:39], v[34:35], v[53:54]
	v_fma_f64 v[6:7], v[36:37], v[51:52], v[55:56]
	v_fma_f64 v[32:33], v[38:39], v[32:33], -v[57:58]
	v_fma_f64 v[34:35], v[36:37], v[49:50], -v[60:61]
	s_clause 0x1
	global_load_dwordx4 v[36:39], v48, s[12:13] offset:128
	global_load_dwordx4 v[48:51], v48, s[12:13] offset:144
	ds_read2_b64 v[52:55], v43 offset0:99 offset1:110
	v_add_nc_u32_e32 v58, 11, v59
	s_waitcnt vmcnt(1)
	v_mul_f64 v[62:63], v[0:1], v[38:39]
	v_mul_f64 v[56:57], v[0:1], v[36:37]
	s_waitcnt vmcnt(0)
	v_mul_f64 v[60:61], v[2:3], v[48:49]
	v_mul_f64 v[64:65], v[2:3], v[50:51]
	s_waitcnt lgkmcnt(0)
	v_fma_f64 v[2:3], v[52:53], v[36:37], -v[62:63]
	ds_read_b64 v[36:37], v42
	v_fma_f64 v[0:1], v[52:53], v[38:39], v[56:57]
	v_fma_f64 v[38:39], v[54:55], v[50:51], v[60:61]
	v_fma_f64 v[42:43], v[54:55], v[48:49], -v[64:65]
	v_add_f64 v[50:51], v[40:41], v[6:7]
	v_mul_lo_u32 v54, s37, v46
	v_mul_lo_u32 v55, s36, v47
	v_mad_u64_u32 v[46:47], null, s36, v46, 0
	v_mad_u64_u32 v[52:53], null, s2, v59, 0
	v_add_f64 v[64:65], v[26:27], v[28:29]
	v_add_f64 v[60:61], v[20:21], -v[24:25]
	v_add_f64 v[62:63], v[16:17], v[14:15]
	v_add_f64 v[56:57], v[18:19], -v[22:23]
	v_add3_u32 v47, v47, v55, v54
	v_mad_u64_u32 v[53:54], null, s3, v59, v[53:54]
	s_waitcnt lgkmcnt(0)
	v_add_f64 v[48:49], v[36:37], v[34:35]
	v_lshlrev_b64 v[54:55], 4, v[46:47]
	v_add_f64 v[68:69], v[32:33], v[2:3]
	v_lshlrev_b64 v[52:53], 4, v[52:53]
	v_add_f64 v[50:51], v[4:5], v[50:51]
	v_add_co_u32 v54, vcc_lo, s10, v54
	v_add_co_ci_u32_e32 v55, vcc_lo, s11, v55, vcc_lo
	v_add_co_u32 v112, vcc_lo, v54, v44
	v_add_co_ci_u32_e32 v113, vcc_lo, v55, v45, vcc_lo
	v_add_f64 v[54:55], v[34:35], v[42:43]
	v_add_co_u32 v44, vcc_lo, v112, v52
	v_add_co_ci_u32_e32 v45, vcc_lo, v113, v53, vcc_lo
	v_add_f64 v[52:53], v[4:5], -v[0:1]
	v_add_f64 v[48:49], v[32:33], v[48:49]
	v_add_f64 v[34:35], v[34:35], -v[42:43]
	v_add_f64 v[32:33], v[32:33], -v[2:3]
	v_mul_f64 v[78:79], v[56:57], s[26:27]
	v_mul_f64 v[82:83], v[60:61], s[0:1]
	;; [unrolled: 1-line block ×3, first 2 shown]
	v_add_f64 v[50:51], v[8:9], v[50:51]
	v_mul_f64 v[110:111], v[56:57], s[30:31]
	v_mul_f64 v[92:93], v[52:53], s[0:1]
	v_add_f64 v[48:49], v[12:13], v[48:49]
	v_mul_f64 v[94:95], v[34:35], s[20:21]
	v_mul_f64 v[96:97], v[32:33], s[0:1]
	v_add_f64 v[50:51], v[20:21], v[50:51]
	v_add_f64 v[48:49], v[26:27], v[48:49]
	v_add_f64 v[26:27], v[26:27], -v[28:29]
	v_add_f64 v[50:51], v[16:17], v[50:51]
	v_add_f64 v[48:49], v[18:19], v[48:49]
	v_mul_f64 v[84:85], v[26:27], s[0:1]
	v_add_f64 v[50:51], v[14:15], v[50:51]
	v_add_f64 v[48:49], v[22:23], v[48:49]
	;; [unrolled: 1-line block ×5, first 2 shown]
	v_add_f64 v[28:29], v[8:9], -v[10:11]
	v_mul_f64 v[8:9], v[52:53], s[30:31]
	v_add_f64 v[50:51], v[10:11], v[50:51]
	v_add_f64 v[48:49], v[30:31], v[48:49]
	v_add_f64 v[30:31], v[12:13], -v[30:31]
	v_add_f64 v[50:51], v[0:1], v[50:51]
	v_add_f64 v[48:49], v[2:3], v[48:49]
	v_fma_f64 v[2:3], v[68:69], s[4:5], v[8:9]
	v_fma_f64 v[8:9], v[68:69], s[4:5], -v[8:9]
	v_mul_f64 v[80:81], v[30:31], s[18:19]
	v_add_f64 v[46:47], v[38:39], v[50:51]
	v_add_f64 v[50:51], v[6:7], -v[38:39]
	v_add_f64 v[38:39], v[6:7], v[38:39]
	v_mul_f64 v[6:7], v[34:35], s[22:23]
	v_add_f64 v[48:49], v[42:43], v[48:49]
	v_add_f64 v[42:43], v[4:5], v[0:1]
	v_mul_f64 v[4:5], v[32:33], s[30:31]
	v_mul_f64 v[90:91], v[50:51], s[20:21]
	v_fma_f64 v[0:1], v[38:39], s[24:25], -v[6:7]
	v_fma_f64 v[6:7], v[38:39], s[24:25], v[6:7]
	global_store_dwordx4 v[44:45], v[46:49], off
	v_mul_f64 v[44:45], v[50:51], s[22:23]
	v_add_f64 v[46:47], v[16:17], -v[14:15]
	v_add_f64 v[48:49], v[18:19], v[22:23]
	v_fma_f64 v[98:99], v[42:43], s[8:9], v[96:97]
	v_fma_f64 v[96:97], v[42:43], s[8:9], -v[96:97]
	v_add_f64 v[0:1], v[40:41], v[0:1]
	v_add_f64 v[6:7], v[40:41], v[6:7]
	v_fma_f64 v[10:11], v[54:55], s[24:25], v[44:45]
	v_mul_f64 v[76:77], v[46:47], s[26:27]
	v_mul_f64 v[86:87], v[46:47], s[22:23]
	;; [unrolled: 1-line block ×3, first 2 shown]
	v_add_f64 v[10:11], v[36:37], v[10:11]
	v_add_f64 v[2:3], v[2:3], v[10:11]
	v_fma_f64 v[10:11], v[42:43], s[4:5], -v[4:5]
	v_fma_f64 v[4:5], v[42:43], s[4:5], v[4:5]
	v_add_f64 v[0:1], v[10:11], v[0:1]
	v_mul_f64 v[10:11], v[28:29], s[0:1]
	v_add_f64 v[4:5], v[4:5], v[6:7]
	v_fma_f64 v[12:13], v[66:67], s[8:9], v[10:11]
	v_fma_f64 v[6:7], v[66:67], s[8:9], -v[10:11]
	v_add_f64 v[2:3], v[12:13], v[2:3]
	v_mul_f64 v[12:13], v[30:31], s[0:1]
	v_fma_f64 v[14:15], v[70:71], s[8:9], -v[12:13]
	v_add_f64 v[0:1], v[14:15], v[0:1]
	v_mul_f64 v[14:15], v[60:61], s[26:27]
	v_fma_f64 v[16:17], v[64:65], s[16:17], v[14:15]
	v_add_f64 v[2:3], v[16:17], v[2:3]
	v_mul_f64 v[16:17], v[26:27], s[26:27]
	v_fma_f64 v[18:19], v[24:25], s[16:17], -v[16:17]
	v_add_f64 v[0:1], v[18:19], v[0:1]
	v_mul_f64 v[18:19], v[46:47], s[18:19]
	v_mul_f64 v[46:47], v[46:47], s[0:1]
	v_fma_f64 v[20:21], v[48:49], s[14:15], v[18:19]
	v_add_f64 v[2:3], v[20:21], v[2:3]
	v_mul_f64 v[20:21], v[56:57], s[18:19]
	v_fma_f64 v[22:23], v[62:63], s[14:15], -v[20:21]
	v_fma_f64 v[10:11], v[62:63], s[14:15], v[20:21]
	v_add_f64 v[0:1], v[22:23], v[0:1]
	v_fma_f64 v[22:23], v[54:55], s[24:25], -v[44:45]
	v_add_f64 v[22:23], v[36:37], v[22:23]
	v_add_f64 v[8:9], v[8:9], v[22:23]
	;; [unrolled: 1-line block ×3, first 2 shown]
	v_fma_f64 v[8:9], v[70:71], s[8:9], v[12:13]
	v_mul_f64 v[12:13], v[50:51], s[0:1]
	v_add_f64 v[4:5], v[8:9], v[4:5]
	v_fma_f64 v[8:9], v[64:65], s[16:17], -v[14:15]
	v_mul_f64 v[14:15], v[52:53], s[34:35]
	v_add_f64 v[6:7], v[8:9], v[6:7]
	v_fma_f64 v[8:9], v[24:25], s[16:17], v[16:17]
	v_mul_f64 v[16:17], v[34:35], s[0:1]
	v_add_f64 v[4:5], v[8:9], v[4:5]
	v_fma_f64 v[8:9], v[48:49], s[14:15], -v[18:19]
	v_mul_f64 v[18:19], v[32:33], s[34:35]
	v_add_f64 v[4:5], v[10:11], v[4:5]
	v_add_f64 v[6:7], v[8:9], v[6:7]
	v_fma_f64 v[8:9], v[54:55], s[8:9], v[12:13]
	v_fma_f64 v[10:11], v[68:69], s[14:15], v[14:15]
	v_fma_f64 v[20:21], v[42:43], s[14:15], -v[18:19]
	v_fma_f64 v[12:13], v[54:55], s[8:9], -v[12:13]
	;; [unrolled: 1-line block ×3, first 2 shown]
	v_add_f64 v[8:9], v[36:37], v[8:9]
	v_add_f64 v[12:13], v[36:37], v[12:13]
	;; [unrolled: 1-line block ×3, first 2 shown]
	v_fma_f64 v[10:11], v[38:39], s[8:9], -v[16:17]
	v_add_f64 v[12:13], v[14:15], v[12:13]
	v_fma_f64 v[14:15], v[38:39], s[8:9], v[16:17]
	v_fma_f64 v[16:17], v[42:43], s[14:15], v[18:19]
	;; [unrolled: 1-line block ×3, first 2 shown]
	v_add_f64 v[10:11], v[40:41], v[10:11]
	v_add_f64 v[14:15], v[40:41], v[14:15]
	;; [unrolled: 1-line block ×3, first 2 shown]
	v_mul_f64 v[20:21], v[28:29], s[6:7]
	v_add_f64 v[14:15], v[16:17], v[14:15]
	v_fma_f64 v[22:23], v[66:67], s[4:5], v[20:21]
	v_fma_f64 v[16:17], v[66:67], s[4:5], -v[20:21]
	v_add_f64 v[8:9], v[22:23], v[8:9]
	v_mul_f64 v[22:23], v[30:31], s[6:7]
	v_add_f64 v[12:13], v[16:17], v[12:13]
	v_fma_f64 v[44:45], v[70:71], s[4:5], -v[22:23]
	v_fma_f64 v[16:17], v[70:71], s[4:5], v[22:23]
	v_fma_f64 v[22:23], v[68:69], s[8:9], -v[92:93]
	v_fma_f64 v[92:93], v[68:69], s[8:9], v[92:93]
	v_add_f64 v[10:11], v[44:45], v[10:11]
	v_mul_f64 v[44:45], v[60:61], s[22:23]
	v_add_f64 v[14:15], v[16:17], v[14:15]
	v_fma_f64 v[72:73], v[64:65], s[24:25], v[44:45]
	v_fma_f64 v[16:17], v[64:65], s[24:25], -v[44:45]
	v_mul_f64 v[44:45], v[50:51], s[6:7]
	v_mul_f64 v[50:51], v[50:51], s[18:19]
	v_add_f64 v[8:9], v[72:73], v[8:9]
	v_mul_f64 v[72:73], v[26:27], s[22:23]
	v_add_f64 v[12:13], v[16:17], v[12:13]
	v_fma_f64 v[74:75], v[24:25], s[24:25], -v[72:73]
	v_fma_f64 v[16:17], v[24:25], s[24:25], v[72:73]
	v_mul_f64 v[72:73], v[52:53], s[20:21]
	v_mul_f64 v[52:53], v[52:53], s[28:29]
	v_add_f64 v[74:75], v[74:75], v[10:11]
	v_fma_f64 v[10:11], v[48:49], s[16:17], v[76:77]
	v_add_f64 v[16:17], v[16:17], v[14:15]
	v_fma_f64 v[14:15], v[48:49], s[16:17], -v[76:77]
	v_mul_f64 v[76:77], v[32:33], s[20:21]
	v_mul_f64 v[32:33], v[32:33], s[28:29]
	v_add_f64 v[10:11], v[10:11], v[8:9]
	v_fma_f64 v[8:9], v[62:63], s[16:17], -v[78:79]
	v_add_f64 v[14:15], v[14:15], v[12:13]
	v_add_f64 v[12:13], v[18:19], v[16:17]
	v_fma_f64 v[16:17], v[54:55], s[4:5], -v[44:45]
	v_fma_f64 v[18:19], v[68:69], s[16:17], -v[72:73]
	v_fma_f64 v[20:21], v[42:43], s[16:17], v[76:77]
	v_mul_f64 v[78:79], v[28:29], s[18:19]
	v_fma_f64 v[44:45], v[54:55], s[4:5], v[44:45]
	v_add_f64 v[8:9], v[8:9], v[74:75]
	v_mul_f64 v[74:75], v[34:35], s[6:7]
	v_mul_f64 v[34:35], v[34:35], s[18:19]
	v_add_f64 v[16:17], v[36:37], v[16:17]
	v_add_f64 v[16:17], v[18:19], v[16:17]
	v_fma_f64 v[18:19], v[38:39], s[4:5], v[74:75]
	v_add_f64 v[18:19], v[40:41], v[18:19]
	v_add_f64 v[18:19], v[20:21], v[18:19]
	v_fma_f64 v[20:21], v[66:67], s[14:15], -v[78:79]
	v_add_f64 v[16:17], v[20:21], v[16:17]
	v_fma_f64 v[20:21], v[70:71], s[14:15], v[80:81]
	v_add_f64 v[18:19], v[20:21], v[18:19]
	v_fma_f64 v[20:21], v[64:65], s[8:9], -v[82:83]
	v_add_f64 v[16:17], v[20:21], v[16:17]
	v_fma_f64 v[20:21], v[24:25], s[8:9], v[84:85]
	;; [unrolled: 4-line block ×3, first 2 shown]
	v_add_f64 v[16:17], v[16:17], v[20:21]
	v_fma_f64 v[20:21], v[54:55], s[16:17], -v[90:91]
	v_fma_f64 v[90:91], v[54:55], s[16:17], v[90:91]
	v_add_f64 v[20:21], v[36:37], v[20:21]
	v_add_f64 v[20:21], v[22:23], v[20:21]
	v_fma_f64 v[22:23], v[38:39], s[16:17], v[94:95]
	v_fma_f64 v[94:95], v[38:39], s[16:17], -v[94:95]
	v_add_f64 v[22:23], v[40:41], v[22:23]
	v_add_f64 v[22:23], v[98:99], v[22:23]
	v_mul_f64 v[98:99], v[28:29], s[28:29]
	v_mul_f64 v[28:29], v[28:29], s[26:27]
	v_fma_f64 v[100:101], v[66:67], s[24:25], -v[98:99]
	v_fma_f64 v[98:99], v[66:67], s[24:25], v[98:99]
	v_add_f64 v[20:21], v[100:101], v[20:21]
	v_mul_f64 v[100:101], v[30:31], s[28:29]
	v_mul_f64 v[30:31], v[30:31], s[26:27]
	v_fma_f64 v[102:103], v[70:71], s[24:25], v[100:101]
	v_add_f64 v[22:23], v[102:103], v[22:23]
	v_mul_f64 v[102:103], v[60:61], s[34:35]
	v_mul_f64 v[60:61], v[60:61], s[6:7]
	v_fma_f64 v[104:105], v[64:65], s[14:15], -v[102:103]
	v_fma_f64 v[102:103], v[64:65], s[14:15], v[102:103]
	v_add_f64 v[20:21], v[104:105], v[20:21]
	v_mul_f64 v[104:105], v[26:27], s[34:35]
	v_mul_f64 v[26:27], v[26:27], s[6:7]
	v_fma_f64 v[106:107], v[24:25], s[14:15], v[104:105]
	v_add_f64 v[106:107], v[106:107], v[22:23]
	v_fma_f64 v[22:23], v[48:49], s[4:5], -v[108:109]
	v_fma_f64 v[108:109], v[48:49], s[4:5], v[108:109]
	v_add_f64 v[22:23], v[22:23], v[20:21]
	v_fma_f64 v[20:21], v[62:63], s[4:5], v[110:111]
	v_add_f64 v[20:21], v[20:21], v[106:107]
	v_fma_f64 v[106:107], v[48:49], s[8:9], v[46:47]
	v_fma_f64 v[46:47], v[48:49], s[8:9], -v[46:47]
	v_fma_f64 v[48:49], v[48:49], s[24:25], v[86:87]
	v_fma_f64 v[86:87], v[64:65], s[4:5], v[60:61]
	v_fma_f64 v[60:61], v[64:65], s[4:5], -v[60:61]
	v_fma_f64 v[64:65], v[64:65], s[8:9], v[82:83]
	;; [unrolled: 3-line block ×4, first 2 shown]
	v_fma_f64 v[72:73], v[54:55], s[14:15], v[50:51]
	v_fma_f64 v[50:51], v[54:55], s[14:15], -v[50:51]
	v_fma_f64 v[54:55], v[42:43], s[24:25], -v[32:33]
	v_fma_f64 v[32:33], v[42:43], s[24:25], v[32:33]
	v_fma_f64 v[42:43], v[42:43], s[16:17], -v[76:77]
	v_fma_f64 v[76:77], v[38:39], s[14:15], -v[34:35]
	v_fma_f64 v[34:35], v[38:39], s[14:15], v[34:35]
	v_fma_f64 v[38:39], v[38:39], s[4:5], -v[74:75]
	v_add_f64 v[74:75], v[36:37], v[90:91]
	v_add_f64 v[72:73], v[36:37], v[72:73]
	;; [unrolled: 1-line block ×10, first 2 shown]
	v_fma_f64 v[72:73], v[70:71], s[24:25], -v[100:101]
	v_add_f64 v[36:37], v[68:69], v[36:37]
	v_add_f64 v[44:45], v[54:55], v[44:45]
	v_fma_f64 v[54:55], v[70:71], s[16:17], -v[30:31]
	v_add_f64 v[32:33], v[32:33], v[34:35]
	v_add_f64 v[34:35], v[92:93], v[74:75]
	;; [unrolled: 1-line block ×3, first 2 shown]
	v_fma_f64 v[30:31], v[70:71], s[16:17], v[30:31]
	v_add_f64 v[38:39], v[42:43], v[38:39]
	v_fma_f64 v[70:71], v[70:71], s[14:15], -v[80:81]
	v_add_f64 v[40:41], v[82:83], v[40:41]
	v_add_f64 v[28:29], v[28:29], v[50:51]
	v_fma_f64 v[50:51], v[24:25], s[14:15], -v[104:105]
	v_add_f64 v[36:37], v[66:67], v[36:37]
	v_add_f64 v[42:43], v[54:55], v[44:45]
	v_fma_f64 v[44:45], v[24:25], s[4:5], v[26:27]
	v_fma_f64 v[26:27], v[24:25], s[4:5], -v[26:27]
	v_fma_f64 v[24:25], v[24:25], s[8:9], -v[84:85]
	v_add_f64 v[30:31], v[30:31], v[32:33]
	v_add_f64 v[32:33], v[98:99], v[34:35]
	;; [unrolled: 1-line block ×4, first 2 shown]
	v_fma_f64 v[52:53], v[62:63], s[4:5], -v[110:111]
	v_fma_f64 v[54:55], v[62:63], s[24:25], -v[88:89]
	v_add_f64 v[40:41], v[86:87], v[40:41]
	v_add_f64 v[28:29], v[60:61], v[28:29]
	v_add_nc_u32_e32 v60, 22, v59
	v_add_f64 v[36:37], v[64:65], v[36:37]
	v_add_nc_u32_e32 v61, 33, v59
	v_add_f64 v[42:43], v[26:27], v[42:43]
	v_mul_f64 v[26:27], v[56:57], s[0:1]
	v_add_f64 v[30:31], v[44:45], v[30:31]
	v_add_f64 v[32:33], v[102:103], v[32:33]
	v_add_f64 v[44:45], v[50:51], v[34:35]
	v_add_f64 v[56:57], v[24:25], v[38:39]
	v_add_f64 v[38:39], v[48:49], v[36:37]
	v_fma_f64 v[34:35], v[62:63], s[8:9], v[26:27]
	v_fma_f64 v[50:51], v[62:63], s[8:9], -v[26:27]
	v_add_f64 v[26:27], v[46:47], v[28:29]
	v_mad_u64_u32 v[46:47], null, s2, v58, 0
	v_add_nc_u32_e32 v62, 44, v59
	v_add_f64 v[36:37], v[54:55], v[56:57]
	v_add_nc_u32_e32 v56, 0x58, v59
	v_mad_u64_u32 v[48:49], null, s2, v62, 0
	v_add_f64 v[24:25], v[34:35], v[30:31]
	v_add_f64 v[30:31], v[106:107], v[40:41]
	;; [unrolled: 1-line block ×3, first 2 shown]
	v_mad_u64_u32 v[40:41], null, s2, v60, 0
	v_add_f64 v[34:35], v[108:109], v[32:33]
	v_add_f64 v[32:33], v[52:53], v[44:45]
	v_mad_u64_u32 v[42:43], null, s2, v61, 0
	v_mov_b32_e32 v44, v47
	v_mad_u64_u32 v[44:45], null, s3, v58, v[44:45]
	v_mad_u64_u32 v[50:51], null, s3, v60, v[41:42]
	v_mov_b32_e32 v41, v49
	v_add_nc_u32_e32 v49, 55, v59
	v_add_nc_u32_e32 v58, 0x63, v59
	v_add_nc_u32_e32 v60, 0x6e, v59
	v_mad_u64_u32 v[51:52], null, s3, v61, v[43:44]
	v_mov_b32_e32 v47, v44
	v_mad_u64_u32 v[44:45], null, s2, v49, 0
	v_mad_u64_u32 v[52:53], null, s3, v62, v[41:42]
	v_mov_b32_e32 v41, v50
	v_mov_b32_e32 v43, v45
	v_lshlrev_b64 v[40:41], 4, v[40:41]
	v_mad_u64_u32 v[53:54], null, s3, v49, v[43:44]
	v_add_nc_u32_e32 v54, 0x42, v59
	v_mov_b32_e32 v43, v51
	v_mov_b32_e32 v49, v52
	v_mad_u64_u32 v[50:51], null, s2, v54, 0
	v_lshlrev_b64 v[42:43], 4, v[42:43]
	v_lshlrev_b64 v[48:49], 4, v[48:49]
	v_mov_b32_e32 v45, v51
	v_mad_u64_u32 v[51:52], null, s3, v54, v[45:46]
	v_add_nc_u32_e32 v54, 0x4d, v59
	v_mov_b32_e32 v45, v53
	v_lshlrev_b64 v[46:47], 4, v[46:47]
	v_mad_u64_u32 v[52:53], null, s2, v54, 0
	v_lshlrev_b64 v[44:45], 4, v[44:45]
	v_add_co_u32 v46, vcc_lo, v112, v46
	v_add_co_ci_u32_e32 v47, vcc_lo, v113, v47, vcc_lo
	v_add_co_u32 v40, vcc_lo, v112, v40
	v_mad_u64_u32 v[53:54], null, s3, v54, v[53:54]
	v_mad_u64_u32 v[54:55], null, s2, v56, 0
	v_add_co_ci_u32_e32 v41, vcc_lo, v113, v41, vcc_lo
	v_add_co_u32 v42, vcc_lo, v112, v42
	v_add_co_ci_u32_e32 v43, vcc_lo, v113, v43, vcc_lo
	v_mad_u64_u32 v[55:56], null, s3, v56, v[55:56]
	v_mad_u64_u32 v[56:57], null, s2, v58, 0
	v_add_co_u32 v48, vcc_lo, v112, v48
	v_lshlrev_b64 v[50:51], 4, v[50:51]
	v_add_co_ci_u32_e32 v49, vcc_lo, v113, v49, vcc_lo
	v_add_co_u32 v44, vcc_lo, v112, v44
	v_mad_u64_u32 v[57:58], null, s3, v58, v[57:58]
	v_mad_u64_u32 v[58:59], null, s2, v60, 0
	v_lshlrev_b64 v[52:53], 4, v[52:53]
	v_add_co_ci_u32_e32 v45, vcc_lo, v113, v45, vcc_lo
	v_add_co_u32 v50, vcc_lo, v112, v50
	v_lshlrev_b64 v[54:55], 4, v[54:55]
	v_mad_u64_u32 v[59:60], null, s3, v60, v[59:60]
	v_add_co_ci_u32_e32 v51, vcc_lo, v113, v51, vcc_lo
	v_add_co_u32 v52, vcc_lo, v112, v52
	v_lshlrev_b64 v[56:57], 4, v[56:57]
	v_add_co_ci_u32_e32 v53, vcc_lo, v113, v53, vcc_lo
	v_add_co_u32 v54, vcc_lo, v112, v54
	v_lshlrev_b64 v[58:59], 4, v[58:59]
	v_add_co_ci_u32_e32 v55, vcc_lo, v113, v55, vcc_lo
	v_add_co_u32 v56, vcc_lo, v112, v56
	v_add_co_ci_u32_e32 v57, vcc_lo, v113, v57, vcc_lo
	v_add_co_u32 v58, vcc_lo, v112, v58
	v_add_co_ci_u32_e32 v59, vcc_lo, v113, v59, vcc_lo
	global_store_dwordx4 v[46:47], v[16:19], off
	global_store_dwordx4 v[40:41], v[20:23], off
	;; [unrolled: 1-line block ×10, first 2 shown]
.LBB0_14:
	s_endpgm
	.section	.rodata,"a",@progbits
	.p2align	6, 0x0
	.amdhsa_kernel fft_rtc_back_len121_factors_11_11_wgs_121_tpt_11_halfLds_dp_op_CI_CI_sbrr_dirReg
		.amdhsa_group_segment_fixed_size 0
		.amdhsa_private_segment_fixed_size 0
		.amdhsa_kernarg_size 104
		.amdhsa_user_sgpr_count 6
		.amdhsa_user_sgpr_private_segment_buffer 1
		.amdhsa_user_sgpr_dispatch_ptr 0
		.amdhsa_user_sgpr_queue_ptr 0
		.amdhsa_user_sgpr_kernarg_segment_ptr 1
		.amdhsa_user_sgpr_dispatch_id 0
		.amdhsa_user_sgpr_flat_scratch_init 0
		.amdhsa_user_sgpr_private_segment_size 0
		.amdhsa_wavefront_size32 1
		.amdhsa_uses_dynamic_stack 0
		.amdhsa_system_sgpr_private_segment_wavefront_offset 0
		.amdhsa_system_sgpr_workgroup_id_x 1
		.amdhsa_system_sgpr_workgroup_id_y 0
		.amdhsa_system_sgpr_workgroup_id_z 0
		.amdhsa_system_sgpr_workgroup_info 0
		.amdhsa_system_vgpr_workitem_id 0
		.amdhsa_next_free_vgpr 170
		.amdhsa_next_free_sgpr 38
		.amdhsa_reserve_vcc 1
		.amdhsa_reserve_flat_scratch 0
		.amdhsa_float_round_mode_32 0
		.amdhsa_float_round_mode_16_64 0
		.amdhsa_float_denorm_mode_32 3
		.amdhsa_float_denorm_mode_16_64 3
		.amdhsa_dx10_clamp 1
		.amdhsa_ieee_mode 1
		.amdhsa_fp16_overflow 0
		.amdhsa_workgroup_processor_mode 1
		.amdhsa_memory_ordered 1
		.amdhsa_forward_progress 0
		.amdhsa_shared_vgpr_count 0
		.amdhsa_exception_fp_ieee_invalid_op 0
		.amdhsa_exception_fp_denorm_src 0
		.amdhsa_exception_fp_ieee_div_zero 0
		.amdhsa_exception_fp_ieee_overflow 0
		.amdhsa_exception_fp_ieee_underflow 0
		.amdhsa_exception_fp_ieee_inexact 0
		.amdhsa_exception_int_div_zero 0
	.end_amdhsa_kernel
	.text
.Lfunc_end0:
	.size	fft_rtc_back_len121_factors_11_11_wgs_121_tpt_11_halfLds_dp_op_CI_CI_sbrr_dirReg, .Lfunc_end0-fft_rtc_back_len121_factors_11_11_wgs_121_tpt_11_halfLds_dp_op_CI_CI_sbrr_dirReg
                                        ; -- End function
	.section	.AMDGPU.csdata,"",@progbits
; Kernel info:
; codeLenInByte = 8348
; NumSgprs: 40
; NumVgprs: 170
; ScratchSize: 0
; MemoryBound: 1
; FloatMode: 240
; IeeeMode: 1
; LDSByteSize: 0 bytes/workgroup (compile time only)
; SGPRBlocks: 4
; VGPRBlocks: 21
; NumSGPRsForWavesPerEU: 40
; NumVGPRsForWavesPerEU: 170
; Occupancy: 5
; WaveLimiterHint : 1
; COMPUTE_PGM_RSRC2:SCRATCH_EN: 0
; COMPUTE_PGM_RSRC2:USER_SGPR: 6
; COMPUTE_PGM_RSRC2:TRAP_HANDLER: 0
; COMPUTE_PGM_RSRC2:TGID_X_EN: 1
; COMPUTE_PGM_RSRC2:TGID_Y_EN: 0
; COMPUTE_PGM_RSRC2:TGID_Z_EN: 0
; COMPUTE_PGM_RSRC2:TIDIG_COMP_CNT: 0
	.text
	.p2alignl 6, 3214868480
	.fill 48, 4, 3214868480
	.type	__hip_cuid_68475180ba29a4d9,@object ; @__hip_cuid_68475180ba29a4d9
	.section	.bss,"aw",@nobits
	.globl	__hip_cuid_68475180ba29a4d9
__hip_cuid_68475180ba29a4d9:
	.byte	0                               ; 0x0
	.size	__hip_cuid_68475180ba29a4d9, 1

	.ident	"AMD clang version 19.0.0git (https://github.com/RadeonOpenCompute/llvm-project roc-6.4.0 25133 c7fe45cf4b819c5991fe208aaa96edf142730f1d)"
	.section	".note.GNU-stack","",@progbits
	.addrsig
	.addrsig_sym __hip_cuid_68475180ba29a4d9
	.amdgpu_metadata
---
amdhsa.kernels:
  - .args:
      - .actual_access:  read_only
        .address_space:  global
        .offset:         0
        .size:           8
        .value_kind:     global_buffer
      - .offset:         8
        .size:           8
        .value_kind:     by_value
      - .actual_access:  read_only
        .address_space:  global
        .offset:         16
        .size:           8
        .value_kind:     global_buffer
      - .actual_access:  read_only
        .address_space:  global
        .offset:         24
        .size:           8
        .value_kind:     global_buffer
      - .actual_access:  read_only
        .address_space:  global
        .offset:         32
        .size:           8
        .value_kind:     global_buffer
      - .offset:         40
        .size:           8
        .value_kind:     by_value
      - .actual_access:  read_only
        .address_space:  global
        .offset:         48
        .size:           8
        .value_kind:     global_buffer
      - .actual_access:  read_only
        .address_space:  global
        .offset:         56
        .size:           8
        .value_kind:     global_buffer
      - .offset:         64
        .size:           4
        .value_kind:     by_value
      - .actual_access:  read_only
        .address_space:  global
        .offset:         72
        .size:           8
        .value_kind:     global_buffer
      - .actual_access:  read_only
        .address_space:  global
        .offset:         80
        .size:           8
        .value_kind:     global_buffer
      - .actual_access:  read_only
        .address_space:  global
        .offset:         88
        .size:           8
        .value_kind:     global_buffer
      - .actual_access:  write_only
        .address_space:  global
        .offset:         96
        .size:           8
        .value_kind:     global_buffer
    .group_segment_fixed_size: 0
    .kernarg_segment_align: 8
    .kernarg_segment_size: 104
    .language:       OpenCL C
    .language_version:
      - 2
      - 0
    .max_flat_workgroup_size: 121
    .name:           fft_rtc_back_len121_factors_11_11_wgs_121_tpt_11_halfLds_dp_op_CI_CI_sbrr_dirReg
    .private_segment_fixed_size: 0
    .sgpr_count:     40
    .sgpr_spill_count: 0
    .symbol:         fft_rtc_back_len121_factors_11_11_wgs_121_tpt_11_halfLds_dp_op_CI_CI_sbrr_dirReg.kd
    .uniform_work_group_size: 1
    .uses_dynamic_stack: false
    .vgpr_count:     170
    .vgpr_spill_count: 0
    .wavefront_size: 32
    .workgroup_processor_mode: 1
amdhsa.target:   amdgcn-amd-amdhsa--gfx1030
amdhsa.version:
  - 1
  - 2
...

	.end_amdgpu_metadata
